;; amdgpu-corpus repo=ROCm/rocFFT kind=compiled arch=gfx906 opt=O3
	.text
	.amdgcn_target "amdgcn-amd-amdhsa--gfx906"
	.amdhsa_code_object_version 6
	.protected	fft_rtc_fwd_len1872_factors_13_3_4_6_2_wgs_156_tpt_156_halfLds_sp_op_CI_CI_sbrr_dirReg ; -- Begin function fft_rtc_fwd_len1872_factors_13_3_4_6_2_wgs_156_tpt_156_halfLds_sp_op_CI_CI_sbrr_dirReg
	.globl	fft_rtc_fwd_len1872_factors_13_3_4_6_2_wgs_156_tpt_156_halfLds_sp_op_CI_CI_sbrr_dirReg
	.p2align	8
	.type	fft_rtc_fwd_len1872_factors_13_3_4_6_2_wgs_156_tpt_156_halfLds_sp_op_CI_CI_sbrr_dirReg,@function
fft_rtc_fwd_len1872_factors_13_3_4_6_2_wgs_156_tpt_156_halfLds_sp_op_CI_CI_sbrr_dirReg: ; @fft_rtc_fwd_len1872_factors_13_3_4_6_2_wgs_156_tpt_156_halfLds_sp_op_CI_CI_sbrr_dirReg
; %bb.0:
	s_load_dwordx4 s[16:19], s[4:5], 0x18
	s_load_dwordx4 s[12:15], s[4:5], 0x0
	;; [unrolled: 1-line block ×3, first 2 shown]
	v_mul_u32_u24_e32 v1, 0x1a5, v0
	v_mov_b32_e32 v3, 0
	s_waitcnt lgkmcnt(0)
	s_load_dwordx2 s[22:23], s[16:17], 0x0
	s_load_dwordx2 s[20:21], s[18:19], 0x0
	v_cmp_lt_u64_e64 s[0:1], s[14:15], 2
	v_mov_b32_e32 v33, 0
	v_add_u32_sdwa v7, s6, v1 dst_sel:DWORD dst_unused:UNUSED_PAD src0_sel:DWORD src1_sel:WORD_1
	v_mov_b32_e32 v8, v3
	s_and_b64 vcc, exec, s[0:1]
	v_mov_b32_e32 v34, 0
	s_cbranch_vccnz .LBB0_8
; %bb.1:
	s_load_dwordx2 s[0:1], s[4:5], 0x10
	s_add_u32 s2, s18, 8
	s_addc_u32 s3, s19, 0
	s_add_u32 s6, s16, 8
	s_addc_u32 s7, s17, 0
	v_mov_b32_e32 v33, 0
	s_waitcnt lgkmcnt(0)
	s_add_u32 s24, s0, 8
	v_mov_b32_e32 v34, 0
	v_mov_b32_e32 v1, v33
	s_addc_u32 s25, s1, 0
	s_mov_b64 s[26:27], 1
	v_mov_b32_e32 v2, v34
.LBB0_2:                                ; =>This Inner Loop Header: Depth=1
	s_load_dwordx2 s[28:29], s[24:25], 0x0
                                        ; implicit-def: $vgpr5_vgpr6
	s_waitcnt lgkmcnt(0)
	v_or_b32_e32 v4, s29, v8
	v_cmp_ne_u64_e32 vcc, 0, v[3:4]
	s_and_saveexec_b64 s[0:1], vcc
	s_xor_b64 s[30:31], exec, s[0:1]
	s_cbranch_execz .LBB0_4
; %bb.3:                                ;   in Loop: Header=BB0_2 Depth=1
	v_cvt_f32_u32_e32 v4, s28
	v_cvt_f32_u32_e32 v5, s29
	s_sub_u32 s0, 0, s28
	s_subb_u32 s1, 0, s29
	v_mac_f32_e32 v4, 0x4f800000, v5
	v_rcp_f32_e32 v4, v4
	v_mul_f32_e32 v4, 0x5f7ffffc, v4
	v_mul_f32_e32 v5, 0x2f800000, v4
	v_trunc_f32_e32 v5, v5
	v_mac_f32_e32 v4, 0xcf800000, v5
	v_cvt_u32_f32_e32 v5, v5
	v_cvt_u32_f32_e32 v4, v4
	v_mul_lo_u32 v6, s0, v5
	v_mul_hi_u32 v9, s0, v4
	v_mul_lo_u32 v11, s1, v4
	v_mul_lo_u32 v10, s0, v4
	v_add_u32_e32 v6, v9, v6
	v_add_u32_e32 v6, v6, v11
	v_mul_hi_u32 v9, v4, v10
	v_mul_lo_u32 v11, v4, v6
	v_mul_hi_u32 v13, v4, v6
	v_mul_hi_u32 v12, v5, v10
	v_mul_lo_u32 v10, v5, v10
	v_mul_hi_u32 v14, v5, v6
	v_add_co_u32_e32 v9, vcc, v9, v11
	v_addc_co_u32_e32 v11, vcc, 0, v13, vcc
	v_mul_lo_u32 v6, v5, v6
	v_add_co_u32_e32 v9, vcc, v9, v10
	v_addc_co_u32_e32 v9, vcc, v11, v12, vcc
	v_addc_co_u32_e32 v10, vcc, 0, v14, vcc
	v_add_co_u32_e32 v6, vcc, v9, v6
	v_addc_co_u32_e32 v9, vcc, 0, v10, vcc
	v_add_co_u32_e32 v4, vcc, v4, v6
	v_addc_co_u32_e32 v5, vcc, v5, v9, vcc
	v_mul_lo_u32 v6, s0, v5
	v_mul_hi_u32 v9, s0, v4
	v_mul_lo_u32 v10, s1, v4
	v_mul_lo_u32 v11, s0, v4
	v_add_u32_e32 v6, v9, v6
	v_add_u32_e32 v6, v6, v10
	v_mul_lo_u32 v12, v4, v6
	v_mul_hi_u32 v13, v4, v11
	v_mul_hi_u32 v14, v4, v6
	;; [unrolled: 1-line block ×3, first 2 shown]
	v_mul_lo_u32 v11, v5, v11
	v_mul_hi_u32 v9, v5, v6
	v_add_co_u32_e32 v12, vcc, v13, v12
	v_addc_co_u32_e32 v13, vcc, 0, v14, vcc
	v_mul_lo_u32 v6, v5, v6
	v_add_co_u32_e32 v11, vcc, v12, v11
	v_addc_co_u32_e32 v10, vcc, v13, v10, vcc
	v_addc_co_u32_e32 v9, vcc, 0, v9, vcc
	v_add_co_u32_e32 v6, vcc, v10, v6
	v_addc_co_u32_e32 v9, vcc, 0, v9, vcc
	v_add_co_u32_e32 v6, vcc, v4, v6
	v_addc_co_u32_e32 v9, vcc, v5, v9, vcc
	v_mad_u64_u32 v[4:5], s[0:1], v7, v9, 0
	v_mul_hi_u32 v10, v7, v6
	v_add_co_u32_e32 v11, vcc, v10, v4
	v_addc_co_u32_e32 v12, vcc, 0, v5, vcc
	v_mad_u64_u32 v[4:5], s[0:1], v8, v6, 0
	v_mad_u64_u32 v[9:10], s[0:1], v8, v9, 0
	v_add_co_u32_e32 v4, vcc, v11, v4
	v_addc_co_u32_e32 v4, vcc, v12, v5, vcc
	v_addc_co_u32_e32 v5, vcc, 0, v10, vcc
	v_add_co_u32_e32 v9, vcc, v4, v9
	v_addc_co_u32_e32 v6, vcc, 0, v5, vcc
	v_mul_lo_u32 v10, s29, v9
	v_mul_lo_u32 v11, s28, v6
	v_mad_u64_u32 v[4:5], s[0:1], s28, v9, 0
	v_add3_u32 v5, v5, v11, v10
	v_sub_u32_e32 v10, v8, v5
	v_mov_b32_e32 v11, s29
	v_sub_co_u32_e32 v4, vcc, v7, v4
	v_subb_co_u32_e64 v10, s[0:1], v10, v11, vcc
	v_subrev_co_u32_e64 v11, s[0:1], s28, v4
	v_subbrev_co_u32_e64 v10, s[0:1], 0, v10, s[0:1]
	v_cmp_le_u32_e64 s[0:1], s29, v10
	v_cndmask_b32_e64 v12, 0, -1, s[0:1]
	v_cmp_le_u32_e64 s[0:1], s28, v11
	v_cndmask_b32_e64 v11, 0, -1, s[0:1]
	v_cmp_eq_u32_e64 s[0:1], s29, v10
	v_cndmask_b32_e64 v10, v12, v11, s[0:1]
	v_add_co_u32_e64 v11, s[0:1], 2, v9
	v_addc_co_u32_e64 v12, s[0:1], 0, v6, s[0:1]
	v_add_co_u32_e64 v13, s[0:1], 1, v9
	v_addc_co_u32_e64 v14, s[0:1], 0, v6, s[0:1]
	v_subb_co_u32_e32 v5, vcc, v8, v5, vcc
	v_cmp_ne_u32_e64 s[0:1], 0, v10
	v_cmp_le_u32_e32 vcc, s29, v5
	v_cndmask_b32_e64 v10, v14, v12, s[0:1]
	v_cndmask_b32_e64 v12, 0, -1, vcc
	v_cmp_le_u32_e32 vcc, s28, v4
	v_cndmask_b32_e64 v4, 0, -1, vcc
	v_cmp_eq_u32_e32 vcc, s29, v5
	v_cndmask_b32_e32 v4, v12, v4, vcc
	v_cmp_ne_u32_e32 vcc, 0, v4
	v_cndmask_b32_e64 v4, v13, v11, s[0:1]
	v_cndmask_b32_e32 v6, v6, v10, vcc
	v_cndmask_b32_e32 v5, v9, v4, vcc
.LBB0_4:                                ;   in Loop: Header=BB0_2 Depth=1
	s_andn2_saveexec_b64 s[0:1], s[30:31]
	s_cbranch_execz .LBB0_6
; %bb.5:                                ;   in Loop: Header=BB0_2 Depth=1
	v_cvt_f32_u32_e32 v4, s28
	s_sub_i32 s30, 0, s28
	v_rcp_iflag_f32_e32 v4, v4
	v_mul_f32_e32 v4, 0x4f7ffffe, v4
	v_cvt_u32_f32_e32 v4, v4
	v_mul_lo_u32 v5, s30, v4
	v_mul_hi_u32 v5, v4, v5
	v_add_u32_e32 v4, v4, v5
	v_mul_hi_u32 v4, v7, v4
	v_mul_lo_u32 v5, v4, s28
	v_add_u32_e32 v6, 1, v4
	v_sub_u32_e32 v5, v7, v5
	v_subrev_u32_e32 v9, s28, v5
	v_cmp_le_u32_e32 vcc, s28, v5
	v_cndmask_b32_e32 v5, v5, v9, vcc
	v_cndmask_b32_e32 v4, v4, v6, vcc
	v_add_u32_e32 v6, 1, v4
	v_cmp_le_u32_e32 vcc, s28, v5
	v_cndmask_b32_e32 v5, v4, v6, vcc
	v_mov_b32_e32 v6, v3
.LBB0_6:                                ;   in Loop: Header=BB0_2 Depth=1
	s_or_b64 exec, exec, s[0:1]
	v_mul_lo_u32 v4, v6, s28
	v_mul_lo_u32 v11, v5, s29
	v_mad_u64_u32 v[9:10], s[0:1], v5, s28, 0
	s_load_dwordx2 s[0:1], s[6:7], 0x0
	s_load_dwordx2 s[28:29], s[2:3], 0x0
	v_add3_u32 v4, v10, v11, v4
	v_sub_co_u32_e32 v7, vcc, v7, v9
	v_subb_co_u32_e32 v4, vcc, v8, v4, vcc
	s_waitcnt lgkmcnt(0)
	v_mul_lo_u32 v8, s0, v4
	v_mul_lo_u32 v9, s1, v7
	v_mad_u64_u32 v[33:34], s[0:1], s0, v7, v[33:34]
	s_add_u32 s26, s26, 1
	s_addc_u32 s27, s27, 0
	s_add_u32 s2, s2, 8
	v_mul_lo_u32 v4, s28, v4
	v_mul_lo_u32 v10, s29, v7
	v_mad_u64_u32 v[1:2], s[0:1], s28, v7, v[1:2]
	v_add3_u32 v34, v9, v34, v8
	s_addc_u32 s3, s3, 0
	v_mov_b32_e32 v7, s14
	s_add_u32 s6, s6, 8
	v_mov_b32_e32 v8, s15
	s_addc_u32 s7, s7, 0
	v_cmp_ge_u64_e32 vcc, s[26:27], v[7:8]
	s_add_u32 s24, s24, 8
	v_add3_u32 v2, v10, v2, v4
	s_addc_u32 s25, s25, 0
	s_cbranch_vccnz .LBB0_9
; %bb.7:                                ;   in Loop: Header=BB0_2 Depth=1
	v_mov_b32_e32 v8, v6
	v_mov_b32_e32 v7, v5
	s_branch .LBB0_2
.LBB0_8:
	v_mov_b32_e32 v1, v33
	v_mov_b32_e32 v5, v7
	;; [unrolled: 1-line block ×4, first 2 shown]
.LBB0_9:
	s_load_dwordx2 s[0:1], s[4:5], 0x28
	s_mov_b32 s4, 0x1a41a42
	v_mul_hi_u32 v3, v0, s4
	s_lshl_b64 s[2:3], s[14:15], 3
	s_add_u32 s4, s18, s2
	s_waitcnt lgkmcnt(0)
	v_cmp_gt_u64_e32 vcc, s[0:1], v[5:6]
	v_mul_u32_u24_e32 v3, 0x9c, v3
	v_sub_u32_e32 v3, v0, v3
	s_movk_i32 s0, 0x90
	v_cmp_gt_u32_e64 s[0:1], s0, v3
	s_addc_u32 s5, s19, s3
	s_and_b64 s[14:15], vcc, s[0:1]
	v_mov_b32_e32 v24, 0
	v_mov_b32_e32 v23, 0
                                        ; implicit-def: $vgpr30
                                        ; implicit-def: $vgpr26
                                        ; implicit-def: $vgpr20
                                        ; implicit-def: $vgpr16
                                        ; implicit-def: $vgpr12
                                        ; implicit-def: $vgpr8
                                        ; implicit-def: $vgpr14
                                        ; implicit-def: $vgpr18
                                        ; implicit-def: $vgpr22
                                        ; implicit-def: $vgpr32
                                        ; implicit-def: $vgpr28
                                        ; implicit-def: $vgpr10
	s_and_saveexec_b64 s[6:7], s[14:15]
	s_cbranch_execz .LBB0_11
; %bb.10:
	s_add_u32 s2, s16, s2
	s_addc_u32 s3, s17, s3
	s_load_dwordx2 s[2:3], s[2:3], 0x0
	v_mad_u64_u32 v[7:8], s[14:15], s22, v3, 0
	v_mov_b32_e32 v0, v8
	s_waitcnt lgkmcnt(0)
	v_mul_lo_u32 v4, s3, v5
	v_mul_lo_u32 v13, s2, v6
	v_mad_u64_u32 v[9:10], s[2:3], s2, v5, 0
	v_mad_u64_u32 v[11:12], s[2:3], s23, v3, v[0:1]
	v_add3_u32 v10, v10, v13, v4
	v_lshlrev_b64 v[9:10], 3, v[9:10]
	v_mov_b32_e32 v0, s9
	v_add_co_u32_e64 v4, s[2:3], s8, v9
	v_add_u32_e32 v13, 0x90, v3
	v_mov_b32_e32 v8, v11
	v_addc_co_u32_e64 v0, s[2:3], v0, v10, s[2:3]
	v_mad_u64_u32 v[11:12], s[2:3], s22, v13, 0
	v_lshlrev_b64 v[9:10], 3, v[33:34]
	v_lshlrev_b64 v[7:8], 3, v[7:8]
	v_add_co_u32_e64 v4, s[2:3], v4, v9
	v_addc_co_u32_e64 v15, s[2:3], v0, v10, s[2:3]
	v_mov_b32_e32 v0, v12
	v_mad_u64_u32 v[9:10], s[2:3], s23, v13, v[0:1]
	v_add_u32_e32 v10, 0x120, v3
	v_mad_u64_u32 v[13:14], s[2:3], s22, v10, 0
	v_add_co_u32_e64 v33, s[2:3], v4, v7
	v_mov_b32_e32 v12, v9
	v_mov_b32_e32 v0, v14
	v_addc_co_u32_e64 v34, s[2:3], v15, v8, s[2:3]
	v_lshlrev_b64 v[7:8], 3, v[11:12]
	v_mad_u64_u32 v[9:10], s[2:3], s23, v10, v[0:1]
	v_add_u32_e32 v12, 0x1b0, v3
	v_mad_u64_u32 v[10:11], s[2:3], s22, v12, 0
	v_add_co_u32_e64 v35, s[2:3], v4, v7
	v_mov_b32_e32 v0, v11
	v_addc_co_u32_e64 v36, s[2:3], v15, v8, s[2:3]
	v_mov_b32_e32 v14, v9
	v_mad_u64_u32 v[11:12], s[2:3], s23, v12, v[0:1]
	v_add_u32_e32 v9, 0x240, v3
	v_lshlrev_b64 v[7:8], 3, v[13:14]
	v_mad_u64_u32 v[12:13], s[2:3], s22, v9, 0
	v_add_co_u32_e64 v37, s[2:3], v4, v7
	v_mov_b32_e32 v0, v13
	v_addc_co_u32_e64 v38, s[2:3], v15, v8, s[2:3]
	v_lshlrev_b64 v[7:8], 3, v[10:11]
	v_mad_u64_u32 v[9:10], s[2:3], s23, v9, v[0:1]
	v_add_u32_e32 v14, 0x2d0, v3
	v_mad_u64_u32 v[10:11], s[2:3], s22, v14, 0
	v_add_co_u32_e64 v39, s[2:3], v4, v7
	v_mov_b32_e32 v13, v9
	v_mov_b32_e32 v0, v11
	v_addc_co_u32_e64 v40, s[2:3], v15, v8, s[2:3]
	v_lshlrev_b64 v[7:8], 3, v[12:13]
	v_mad_u64_u32 v[11:12], s[2:3], s23, v14, v[0:1]
	v_add_u32_e32 v9, 0x360, v3
	v_mad_u64_u32 v[12:13], s[2:3], s22, v9, 0
	v_add_co_u32_e64 v41, s[2:3], v4, v7
	v_mov_b32_e32 v0, v13
	v_addc_co_u32_e64 v42, s[2:3], v15, v8, s[2:3]
	v_lshlrev_b64 v[7:8], 3, v[10:11]
	v_mad_u64_u32 v[9:10], s[2:3], s23, v9, v[0:1]
	v_add_u32_e32 v14, 0x3f0, v3
	v_mad_u64_u32 v[10:11], s[2:3], s22, v14, 0
	v_add_co_u32_e64 v43, s[2:3], v4, v7
	v_mov_b32_e32 v13, v9
	v_mov_b32_e32 v0, v11
	v_addc_co_u32_e64 v44, s[2:3], v15, v8, s[2:3]
	v_lshlrev_b64 v[7:8], 3, v[12:13]
	v_mad_u64_u32 v[11:12], s[2:3], s23, v14, v[0:1]
	v_add_u32_e32 v9, 0x480, v3
	;; [unrolled: 15-line block ×4, first 2 shown]
	v_mad_u64_u32 v[12:13], s[2:3], s22, v9, 0
	v_add_co_u32_e64 v53, s[2:3], v4, v7
	v_mov_b32_e32 v0, v13
	v_addc_co_u32_e64 v54, s[2:3], v15, v8, s[2:3]
	v_lshlrev_b64 v[7:8], 3, v[10:11]
	v_mad_u64_u32 v[9:10], s[2:3], s23, v9, v[0:1]
	v_add_co_u32_e64 v55, s[2:3], v4, v7
	v_mov_b32_e32 v13, v9
	v_addc_co_u32_e64 v56, s[2:3], v15, v8, s[2:3]
	v_lshlrev_b64 v[7:8], 3, v[12:13]
	v_add_co_u32_e64 v57, s[2:3], v4, v7
	v_addc_co_u32_e64 v58, s[2:3], v15, v8, s[2:3]
	global_load_dwordx2 v[23:24], v[33:34], off
	global_load_dwordx2 v[29:30], v[35:36], off
	;; [unrolled: 1-line block ×13, first 2 shown]
.LBB0_11:
	s_or_b64 exec, exec, s[6:7]
	s_and_saveexec_b64 s[2:3], s[0:1]
	s_cbranch_execz .LBB0_13
; %bb.12:
	s_waitcnt vmcnt(0)
	v_sub_f32_e32 v46, v30, v32
	v_mul_f32_e32 v0, 0xbe750f2a, v46
	v_sub_f32_e32 v47, v26, v28
	v_add_f32_e32 v39, v29, v31
	v_mov_b32_e32 v4, v0
	v_mul_f32_e32 v33, 0x3eedf032, v47
	v_fmac_f32_e32 v4, 0xbf788fa5, v39
	v_add_f32_e32 v40, v25, v27
	v_mov_b32_e32 v34, v33
	v_add_f32_e32 v4, v23, v4
	v_fmac_f32_e32 v34, 0x3f62ad3f, v40
	v_sub_f32_e32 v48, v20, v22
	v_add_f32_e32 v4, v4, v34
	v_mul_f32_e32 v34, 0xbf29c268, v48
	v_add_f32_e32 v42, v19, v21
	v_mov_b32_e32 v35, v34
	v_fmac_f32_e32 v35, 0xbf3f9e67, v42
	v_sub_f32_e32 v49, v16, v18
	v_add_f32_e32 v4, v35, v4
	v_mul_f32_e32 v35, 0x3f52af12, v49
	s_mov_b32 s6, 0xbf788fa5
	v_add_f32_e32 v41, v15, v17
	v_mov_b32_e32 v36, v35
	s_mov_b32 s8, 0x3f62ad3f
	v_fmac_f32_e32 v36, 0x3f116cb1, v41
	v_sub_f32_e32 v51, v12, v14
	v_fma_f32 v0, v39, s6, -v0
	s_mov_b32 s7, 0xbf3f9e67
	v_add_f32_e32 v4, v36, v4
	v_mul_f32_e32 v36, 0xbf6f5d39, v51
	v_add_f32_e32 v0, v23, v0
	v_fma_f32 v33, v40, s8, -v33
	s_mov_b32 s14, 0x3f116cb1
	v_add_f32_e32 v44, v11, v13
	v_mov_b32_e32 v37, v36
	v_add_f32_e32 v0, v0, v33
	v_fma_f32 v33, v42, s7, -v34
	s_mov_b32 s9, 0xbeb58ec6
	v_fmac_f32_e32 v37, 0xbeb58ec6, v44
	v_sub_f32_e32 v52, v8, v10
	v_add_f32_e32 v0, v33, v0
	v_fma_f32 v33, v41, s14, -v35
	v_add_f32_e32 v4, v37, v4
	v_add_f32_e32 v43, v7, v9
	v_mul_f32_e32 v37, 0x3f7e222b, v52
	s_mov_b32 s15, 0x3df6dbef
	v_add_f32_e32 v0, v33, v0
	v_fma_f32 v33, v44, s9, -v36
	v_add_f32_e32 v0, v33, v0
	v_fma_f32 v33, v43, s15, -v37
	v_mul_f32_e32 v34, 0xbf29c268, v46
	v_add_f32_e32 v33, v33, v0
	v_mov_b32_e32 v0, v34
	v_mul_f32_e32 v35, 0x3f7e222b, v47
	v_fmac_f32_e32 v0, 0xbf3f9e67, v39
	v_mov_b32_e32 v36, v35
	v_add_f32_e32 v0, v23, v0
	v_fmac_f32_e32 v36, 0x3df6dbef, v40
	v_add_f32_e32 v0, v0, v36
	v_mul_f32_e32 v36, 0xbf52af12, v48
	v_mov_b32_e32 v38, v37
	v_mov_b32_e32 v37, v36
	v_fmac_f32_e32 v37, 0x3f116cb1, v42
	v_fmac_f32_e32 v38, 0x3df6dbef, v43
	v_add_f32_e32 v0, v37, v0
	v_mul_f32_e32 v37, 0x3e750f2a, v49
	v_add_f32_e32 v4, v38, v4
	v_mov_b32_e32 v38, v37
	v_fmac_f32_e32 v38, 0xbf788fa5, v41
	v_fma_f32 v34, v39, s7, -v34
	v_add_f32_e32 v0, v38, v0
	v_mul_f32_e32 v38, 0x3eedf032, v51
	v_add_f32_e32 v34, v23, v34
	v_fma_f32 v35, v40, s15, -v35
	v_mov_b32_e32 v45, v38
	v_add_f32_e32 v34, v34, v35
	v_fma_f32 v35, v42, s14, -v36
	v_fmac_f32_e32 v45, 0x3f62ad3f, v44
	v_add_f32_e32 v34, v35, v34
	v_fma_f32 v35, v41, s6, -v37
	v_add_f32_e32 v0, v45, v0
	v_mul_f32_e32 v45, 0xbf6f5d39, v52
	v_add_f32_e32 v34, v35, v34
	v_fma_f32 v35, v44, s8, -v38
	v_add_f32_e32 v34, v35, v34
	v_fma_f32 v35, v43, s9, -v45
	v_add_f32_e32 v37, v35, v34
	v_mul_f32_e32 v34, 0xbf6f5d39, v46
	v_mov_b32_e32 v35, v34
	v_mul_f32_e32 v36, 0x3f29c268, v47
	v_fmac_f32_e32 v35, 0xbeb58ec6, v39
	v_mov_b32_e32 v38, v36
	v_add_f32_e32 v35, v23, v35
	v_fmac_f32_e32 v38, 0xbf3f9e67, v40
	v_add_f32_e32 v35, v35, v38
	v_mul_f32_e32 v38, 0x3eedf032, v48
	v_mov_b32_e32 v50, v45
	v_mov_b32_e32 v45, v38
	v_fmac_f32_e32 v45, 0x3f62ad3f, v42
	v_fmac_f32_e32 v50, 0xbeb58ec6, v43
	v_add_f32_e32 v35, v45, v35
	v_mul_f32_e32 v45, 0xbf7e222b, v49
	v_add_f32_e32 v0, v50, v0
	v_mov_b32_e32 v50, v45
	v_fmac_f32_e32 v50, 0x3df6dbef, v41
	v_fma_f32 v34, v39, s9, -v34
	v_add_f32_e32 v35, v50, v35
	v_mul_f32_e32 v50, 0x3e750f2a, v51
	v_add_f32_e32 v34, v23, v34
	v_fma_f32 v36, v40, s7, -v36
	v_mov_b32_e32 v53, v50
	v_add_f32_e32 v34, v34, v36
	v_fma_f32 v36, v42, s8, -v38
	v_fmac_f32_e32 v53, 0xbf788fa5, v44
	v_add_f32_e32 v34, v36, v34
	v_fma_f32 v36, v41, s15, -v45
	v_add_f32_e32 v35, v53, v35
	v_mul_f32_e32 v53, 0x3f52af12, v52
	v_add_f32_e32 v34, v36, v34
	v_fma_f32 v36, v44, s6, -v50
	v_add_f32_e32 v34, v36, v34
	v_fma_f32 v36, v43, s14, -v53
	v_add_f32_e32 v38, v36, v34
	v_mul_f32_e32 v36, 0xbf7e222b, v46
	v_mov_b32_e32 v34, v36
	v_mul_f32_e32 v45, 0xbe750f2a, v47
	v_fmac_f32_e32 v34, 0x3df6dbef, v39
	v_mov_b32_e32 v50, v45
	v_add_f32_e32 v34, v23, v34
	v_fmac_f32_e32 v50, 0xbf788fa5, v40
	v_add_f32_e32 v34, v34, v50
	v_mul_f32_e32 v50, 0x3f6f5d39, v48
	v_mov_b32_e32 v54, v53
	v_mov_b32_e32 v53, v50
	v_fmac_f32_e32 v53, 0xbeb58ec6, v42
	v_fmac_f32_e32 v54, 0x3f116cb1, v43
	v_add_f32_e32 v34, v53, v34
	v_mul_f32_e32 v53, 0x3eedf032, v49
	v_add_f32_e32 v35, v54, v35
	v_mov_b32_e32 v54, v53
	v_fmac_f32_e32 v54, 0x3f62ad3f, v41
	v_fma_f32 v36, v39, s15, -v36
	v_add_f32_e32 v34, v54, v34
	v_mul_f32_e32 v54, 0xbf52af12, v51
	v_add_f32_e32 v36, v23, v36
	v_fma_f32 v45, v40, s6, -v45
	v_mov_b32_e32 v55, v54
	v_add_f32_e32 v36, v36, v45
	v_fma_f32 v45, v42, s9, -v50
	v_fmac_f32_e32 v55, 0x3f116cb1, v44
	v_add_f32_e32 v36, v45, v36
	v_fma_f32 v45, v41, s8, -v53
	v_add_f32_e32 v34, v55, v34
	v_mul_f32_e32 v55, 0xbf29c268, v52
	v_add_f32_e32 v36, v45, v36
	v_fma_f32 v45, v44, s14, -v54
	v_add_f32_e32 v36, v45, v36
	v_fma_f32 v45, v43, s7, -v55
	v_mul_f32_e32 v50, 0xbf52af12, v46
	v_add_f32_e32 v45, v45, v36
	v_mov_b32_e32 v36, v50
	v_mul_f32_e32 v53, 0xbf6f5d39, v47
	v_fmac_f32_e32 v36, 0x3f116cb1, v39
	v_mov_b32_e32 v54, v53
	v_add_f32_e32 v36, v23, v36
	v_fmac_f32_e32 v54, 0xbeb58ec6, v40
	v_add_f32_e32 v36, v36, v54
	v_mul_f32_e32 v54, 0xbe750f2a, v48
	v_mov_b32_e32 v56, v55
	v_mov_b32_e32 v55, v54
	v_fmac_f32_e32 v55, 0xbf788fa5, v42
	v_fmac_f32_e32 v56, 0xbf3f9e67, v43
	v_add_f32_e32 v36, v55, v36
	v_mul_f32_e32 v55, 0x3f29c268, v49
	v_add_f32_e32 v34, v56, v34
	v_mov_b32_e32 v56, v55
	v_fmac_f32_e32 v56, 0xbf3f9e67, v41
	v_fma_f32 v50, v39, s14, -v50
	v_add_f32_e32 v36, v56, v36
	v_mul_f32_e32 v56, 0x3f7e222b, v51
	v_add_f32_e32 v50, v23, v50
	v_fma_f32 v53, v40, s9, -v53
	v_mov_b32_e32 v57, v56
	v_add_f32_e32 v50, v50, v53
	v_fma_f32 v53, v42, s6, -v54
	v_fmac_f32_e32 v57, 0x3df6dbef, v44
	v_add_f32_e32 v50, v53, v50
	v_fma_f32 v53, v41, s7, -v55
	v_add_f32_e32 v36, v57, v36
	v_mul_f32_e32 v57, 0x3eedf032, v52
	v_add_f32_e32 v50, v53, v50
	v_fma_f32 v53, v44, s15, -v56
	v_add_f32_e32 v50, v53, v50
	v_fma_f32 v53, v43, s8, -v57
	v_mul_f32_e32 v46, 0xbeedf032, v46
	v_add_f32_e32 v50, v53, v50
	v_mov_b32_e32 v53, v46
	v_fmac_f32_e32 v53, 0x3f62ad3f, v39
	v_fma_f32 v39, v39, s8, -v46
	v_add_f32_e32 v53, v23, v53
	v_add_f32_e32 v39, v23, v39
	;; [unrolled: 1-line block ×3, first 2 shown]
	v_mul_f32_e32 v47, 0xbf52af12, v47
	v_add_f32_e32 v23, v23, v25
	v_mov_b32_e32 v54, v47
	v_add_f32_e32 v23, v23, v19
	v_fmac_f32_e32 v54, 0x3f116cb1, v40
	v_mul_f32_e32 v48, 0xbf7e222b, v48
	v_add_f32_e32 v23, v23, v15
	v_add_f32_e32 v53, v53, v54
	v_mov_b32_e32 v54, v48
	v_add_f32_e32 v23, v23, v11
	v_fmac_f32_e32 v54, 0x3df6dbef, v42
	v_mul_f32_e32 v49, 0xbf6f5d39, v49
	v_add_f32_e32 v23, v23, v7
	v_add_f32_e32 v53, v54, v53
	v_mov_b32_e32 v54, v49
	v_fma_f32 v40, v40, s14, -v47
	v_add_f32_e32 v23, v23, v9
	v_fmac_f32_e32 v54, 0xbeb58ec6, v41
	v_mul_f32_e32 v51, 0xbf29c268, v51
	v_add_f32_e32 v39, v39, v40
	v_fma_f32 v40, v42, s15, -v48
	v_add_f32_e32 v23, v13, v23
	v_add_f32_e32 v53, v54, v53
	v_mov_b32_e32 v54, v51
	v_add_f32_e32 v39, v40, v39
	v_fma_f32 v40, v41, s9, -v49
	v_add_f32_e32 v23, v17, v23
	v_fmac_f32_e32 v54, 0xbf3f9e67, v44
	v_mul_f32_e32 v52, 0xbe750f2a, v52
	v_add_f32_e32 v39, v40, v39
	v_fma_f32 v40, v44, s7, -v51
	v_add_f32_e32 v23, v21, v23
	v_mov_b32_e32 v58, v57
	v_add_f32_e32 v53, v54, v53
	v_mov_b32_e32 v54, v52
	v_add_f32_e32 v39, v40, v39
	v_fma_f32 v40, v43, s6, -v52
	v_add_f32_e32 v23, v27, v23
	v_fmac_f32_e32 v58, 0x3f62ad3f, v43
	v_fmac_f32_e32 v54, 0xbf788fa5, v43
	v_add_f32_e32 v39, v40, v39
	v_add_f32_e32 v23, v31, v23
	v_mad_u32_u24 v40, v3, 52, 0
	v_add_f32_e32 v36, v58, v36
	v_add_f32_e32 v53, v54, v53
	ds_write2_b32 v40, v23, v39 offset1:1
	ds_write2_b32 v40, v50, v45 offset0:2 offset1:3
	ds_write2_b32 v40, v38, v37 offset0:4 offset1:5
	;; [unrolled: 1-line block ×5, first 2 shown]
	ds_write_b32 v40, v53 offset:48
.LBB0_13:
	s_or_b64 exec, exec, s[2:3]
	v_lshl_add_u32 v0, v3, 2, 0
	v_add_u32_e32 v4, 0x900, v0
	s_waitcnt vmcnt(12)
	v_add_u32_e32 v23, 0x1200, v0
	v_add_u32_e32 v45, 0x400, v0
	;; [unrolled: 1-line block ×4, first 2 shown]
	s_waitcnt vmcnt(0) lgkmcnt(0)
	s_barrier
	ds_read2_b32 v[35:36], v0 offset1:156
	ds_read2_b32 v[43:44], v4 offset0:48 offset1:204
	ds_read2_b32 v[41:42], v23 offset0:96 offset1:252
	;; [unrolled: 1-line block ×5, first 2 shown]
	s_waitcnt lgkmcnt(0)
	s_barrier
	s_and_saveexec_b64 s[2:3], s[0:1]
	s_cbranch_execz .LBB0_15
; %bb.14:
	v_add_f32_e32 v48, v24, v30
	v_add_f32_e32 v48, v48, v26
	;; [unrolled: 1-line block ×9, first 2 shown]
	v_sub_f32_e32 v29, v29, v31
	v_add_f32_e32 v48, v22, v48
	v_mul_f32_e32 v31, 0xbeedf032, v29
	v_mul_f32_e32 v49, 0xbf52af12, v29
	;; [unrolled: 1-line block ×6, first 2 shown]
	v_add_f32_e32 v48, v28, v48
	v_add_f32_e32 v30, v30, v32
	s_mov_b32 s6, 0x3f62ad3f
	s_mov_b32 s1, 0x3f116cb1
	s_mov_b32 s0, 0x3df6dbef
	s_mov_b32 s7, 0xbeb58ec6
	s_mov_b32 s8, 0xbf3f9e67
	s_mov_b32 s9, 0xbf788fa5
	v_mov_b32_e32 v57, v29
	v_sub_f32_e32 v25, v25, v27
	v_add_f32_e32 v48, v32, v48
	v_fma_f32 v32, v30, s6, -v31
	v_fmac_f32_e32 v31, 0x3f62ad3f, v30
	v_fma_f32 v50, v30, s1, -v49
	v_fmac_f32_e32 v49, 0x3f116cb1, v30
	;; [unrolled: 2-line block ×5, first 2 shown]
	v_fmac_f32_e32 v57, 0xbf788fa5, v30
	v_fma_f32 v29, v30, s9, -v29
	v_add_f32_e32 v26, v26, v28
	v_mul_f32_e32 v27, 0xbf52af12, v25
	v_add_f32_e32 v31, v24, v31
	v_add_f32_e32 v32, v24, v32
	;; [unrolled: 1-line block ×12, first 2 shown]
	v_fma_f32 v28, v26, s1, -v27
	v_fmac_f32_e32 v27, 0x3f116cb1, v26
	v_mul_f32_e32 v29, 0xbf6f5d39, v25
	v_add_f32_e32 v27, v31, v27
	v_fma_f32 v30, v26, s7, -v29
	v_fmac_f32_e32 v29, 0xbeb58ec6, v26
	v_mul_f32_e32 v31, 0xbe750f2a, v25
	v_add_f32_e32 v28, v32, v28
	v_add_f32_e32 v29, v49, v29
	v_fma_f32 v32, v26, s9, -v31
	v_fmac_f32_e32 v31, 0xbf788fa5, v26
	v_mul_f32_e32 v49, 0x3f29c268, v25
	v_add_f32_e32 v30, v50, v30
	v_add_f32_e32 v31, v51, v31
	v_fma_f32 v50, v26, s8, -v49
	v_fmac_f32_e32 v49, 0xbf3f9e67, v26
	v_mul_f32_e32 v51, 0x3f7e222b, v25
	v_mul_f32_e32 v25, 0x3eedf032, v25
	v_sub_f32_e32 v19, v19, v21
	v_add_f32_e32 v49, v53, v49
	v_mov_b32_e32 v53, v25
	v_fma_f32 v25, v26, s6, -v25
	v_add_f32_e32 v20, v20, v22
	v_mul_f32_e32 v21, 0xbf7e222b, v19
	v_add_f32_e32 v24, v24, v25
	v_fma_f32 v22, v20, s0, -v21
	v_fmac_f32_e32 v21, 0x3df6dbef, v20
	v_mul_f32_e32 v25, 0xbe750f2a, v19
	v_add_f32_e32 v32, v52, v32
	v_fma_f32 v52, v26, s0, -v51
	v_fmac_f32_e32 v51, 0x3df6dbef, v26
	v_fmac_f32_e32 v53, 0x3f62ad3f, v26
	v_add_f32_e32 v21, v21, v27
	v_fma_f32 v26, v20, s9, -v25
	v_fmac_f32_e32 v25, 0xbf788fa5, v20
	v_mul_f32_e32 v27, 0x3f6f5d39, v19
	v_add_f32_e32 v22, v22, v28
	v_add_f32_e32 v25, v25, v29
	v_fma_f32 v28, v20, s7, -v27
	v_fmac_f32_e32 v27, 0xbeb58ec6, v20
	v_mul_f32_e32 v29, 0x3eedf032, v19
	v_add_f32_e32 v26, v26, v30
	v_add_f32_e32 v27, v27, v31
	v_fma_f32 v30, v20, s6, -v29
	v_fmac_f32_e32 v29, 0x3f62ad3f, v20
	v_mul_f32_e32 v31, 0xbf52af12, v19
	v_mul_f32_e32 v19, 0xbf29c268, v19
	v_sub_f32_e32 v15, v15, v17
	v_add_f32_e32 v29, v29, v49
	v_mov_b32_e32 v49, v19
	v_add_f32_e32 v16, v16, v18
	v_mul_f32_e32 v17, 0xbf6f5d39, v15
	v_add_f32_e32 v28, v28, v32
	v_fma_f32 v32, v20, s1, -v31
	v_fmac_f32_e32 v31, 0x3f116cb1, v20
	v_fmac_f32_e32 v49, 0xbf3f9e67, v20
	v_fma_f32 v19, v20, s8, -v19
	v_fma_f32 v18, v16, s7, -v17
	v_fmac_f32_e32 v17, 0xbeb58ec6, v16
	v_mul_f32_e32 v20, 0x3f29c268, v15
	v_add_f32_e32 v17, v17, v21
	v_add_f32_e32 v18, v18, v22
	v_fma_f32 v21, v16, s8, -v20
	v_fmac_f32_e32 v20, 0xbf3f9e67, v16
	v_mul_f32_e32 v22, 0x3eedf032, v15
	v_add_f32_e32 v19, v19, v24
	v_add_f32_e32 v20, v20, v25
	v_fma_f32 v24, v16, s6, -v22
	v_fmac_f32_e32 v22, 0x3f62ad3f, v16
	v_mul_f32_e32 v25, 0xbf7e222b, v15
	v_add_f32_e32 v21, v21, v26
	v_add_f32_e32 v22, v22, v27
	v_fma_f32 v26, v16, s0, -v25
	v_fmac_f32_e32 v25, 0x3df6dbef, v16
	v_mul_f32_e32 v27, 0x3e750f2a, v15
	v_mul_f32_e32 v15, 0x3f52af12, v15
	v_sub_f32_e32 v11, v11, v13
	v_add_f32_e32 v25, v25, v29
	v_mov_b32_e32 v29, v15
	v_add_f32_e32 v12, v12, v14
	v_mul_f32_e32 v13, 0xbf29c268, v11
	v_add_f32_e32 v24, v24, v28
	v_fma_f32 v28, v16, s9, -v27
	v_fmac_f32_e32 v27, 0xbf788fa5, v16
	v_fmac_f32_e32 v29, 0x3f116cb1, v16
	v_fma_f32 v15, v16, s1, -v15
	v_fma_f32 v14, v12, s8, -v13
	v_fmac_f32_e32 v13, 0xbf3f9e67, v12
	v_mul_f32_e32 v16, 0x3f7e222b, v11
	v_add_f32_e32 v13, v13, v17
	v_add_f32_e32 v14, v14, v18
	v_fma_f32 v17, v12, s0, -v16
	v_fmac_f32_e32 v16, 0x3df6dbef, v12
	v_mul_f32_e32 v18, 0xbf52af12, v11
	v_add_f32_e32 v15, v15, v19
	v_add_f32_e32 v16, v16, v20
	v_fma_f32 v19, v12, s1, -v18
	v_fmac_f32_e32 v18, 0x3f116cb1, v12
	v_mul_f32_e32 v20, 0x3e750f2a, v11
	v_add_f32_e32 v17, v17, v21
	v_add_f32_e32 v18, v18, v22
	v_fma_f32 v21, v12, s9, -v20
	v_fmac_f32_e32 v20, 0xbf788fa5, v12
	v_mul_f32_e32 v22, 0x3eedf032, v11
	v_mul_f32_e32 v11, 0xbf6f5d39, v11
	v_sub_f32_e32 v7, v7, v9
	v_add_f32_e32 v20, v20, v25
	v_mov_b32_e32 v25, v11
	v_add_f32_e32 v8, v8, v10
	v_mul_f32_e32 v9, 0xbe750f2a, v7
	v_add_f32_e32 v19, v19, v24
	v_fma_f32 v24, v12, s6, -v22
	v_fmac_f32_e32 v22, 0x3f62ad3f, v12
	v_fmac_f32_e32 v25, 0xbeb58ec6, v12
	v_fma_f32 v11, v12, s7, -v11
	v_fma_f32 v10, v8, s9, -v9
	v_fmac_f32_e32 v9, 0xbf788fa5, v8
	v_mul_f32_e32 v12, 0x3eedf032, v7
	v_add_f32_e32 v9, v9, v13
	v_add_f32_e32 v10, v10, v14
	v_fma_f32 v13, v8, s6, -v12
	v_fmac_f32_e32 v12, 0x3f62ad3f, v8
	v_mul_f32_e32 v14, 0xbf29c268, v7
	v_add_f32_e32 v50, v54, v50
	v_add_f32_e32 v51, v55, v51
	;; [unrolled: 1-line block ×6, first 2 shown]
	v_fma_f32 v15, v8, s8, -v14
	v_fmac_f32_e32 v14, 0xbf3f9e67, v8
	v_mul_f32_e32 v16, 0x3f52af12, v7
	v_add_f32_e32 v30, v30, v50
	v_add_f32_e32 v31, v31, v51
	v_add_f32_e32 v32, v32, v52
	v_add_f32_e32 v49, v49, v53
	v_add_f32_e32 v13, v13, v17
	v_add_f32_e32 v14, v14, v18
	v_fma_f32 v17, v8, s1, -v16
	v_fmac_f32_e32 v16, 0x3f116cb1, v8
	v_mul_f32_e32 v18, 0xbf6f5d39, v7
	v_mul_f32_e32 v7, 0x3f7e222b, v7
	v_add_f32_e32 v26, v26, v30
	v_add_f32_e32 v27, v27, v31
	;; [unrolled: 1-line block ×5, first 2 shown]
	v_mov_b32_e32 v20, v7
	v_add_f32_e32 v21, v21, v26
	v_add_f32_e32 v22, v22, v27
	;; [unrolled: 1-line block ×5, first 2 shown]
	v_fma_f32 v19, v8, s7, -v18
	v_fmac_f32_e32 v18, 0xbeb58ec6, v8
	v_fmac_f32_e32 v20, 0x3df6dbef, v8
	v_fma_f32 v7, v8, s0, -v7
	v_mad_u32_u24 v8, v3, 48, v0
	v_add_f32_e32 v17, v17, v21
	v_add_f32_e32 v18, v18, v22
	;; [unrolled: 1-line block ×5, first 2 shown]
	ds_write2_b32 v8, v48, v9 offset1:1
	ds_write2_b32 v8, v12, v14 offset0:2 offset1:3
	ds_write2_b32 v8, v16, v18 offset0:4 offset1:5
	;; [unrolled: 1-line block ×5, first 2 shown]
	ds_write_b32 v8, v10 offset:48
.LBB0_15:
	s_or_b64 exec, exec, s[2:3]
	s_movk_i32 s2, 0x4f
	v_mul_lo_u16_sdwa v7, v3, s2 dst_sel:DWORD dst_unused:UNUSED_PAD src0_sel:BYTE_0 src1_sel:DWORD
	v_lshrrev_b16_e32 v22, 10, v7
	v_mul_lo_u16_e32 v7, 13, v22
	v_sub_u16_e32 v32, v3, v7
	v_mov_b32_e32 v7, 4
	v_add_u32_e32 v21, 0x9c, v3
	s_movk_i32 s2, 0x4ec5
	v_lshlrev_b32_sdwa v7, v7, v32 dst_sel:DWORD dst_unused:UNUSED_PAD src0_sel:DWORD src1_sel:BYTE_0
	v_mul_u32_u24_sdwa v11, v21, s2 dst_sel:DWORD dst_unused:UNUSED_PAD src0_sel:WORD_0 src1_sel:DWORD
	s_load_dwordx2 s[0:1], s[4:5], 0x0
	s_waitcnt lgkmcnt(0)
	s_barrier
	global_load_dwordx4 v[7:10], v7, s[12:13]
	v_add_u32_e32 v20, 0x138, v3
	v_add_u32_e32 v19, 0x1d4, v3
	v_lshrrev_b32_e32 v52, 18, v11
	v_mul_lo_u16_e32 v11, 13, v52
	v_mul_u32_u24_sdwa v15, v20, s2 dst_sel:DWORD dst_unused:UNUSED_PAD src0_sel:WORD_0 src1_sel:DWORD
	v_mul_u32_u24_sdwa v24, v19, s2 dst_sel:DWORD dst_unused:UNUSED_PAD src0_sel:WORD_0 src1_sel:DWORD
	v_sub_u16_e32 v53, v21, v11
	v_lshrrev_b32_e32 v54, 18, v15
	v_lshrrev_b32_e32 v56, 18, v24
	v_lshlrev_b32_e32 v11, 4, v53
	global_load_dwordx4 v[11:14], v11, s[12:13]
	v_mul_lo_u16_e32 v15, 13, v54
	v_mul_lo_u16_e32 v24, 13, v56
	v_sub_u16_e32 v55, v20, v15
	v_sub_u16_e32 v57, v19, v24
	v_lshlrev_b32_e32 v15, 4, v55
	v_lshlrev_b32_e32 v24, 4, v57
	global_load_dwordx4 v[15:18], v15, s[12:13]
	s_movk_i32 s2, 0xa5
	global_load_dwordx4 v[24:27], v24, s[12:13]
	ds_read2_b32 v[28:29], v4 offset0:48 offset1:204
	ds_read2_b32 v[30:31], v23 offset0:96 offset1:252
	ds_read2_b32 v[48:49], v0 offset1:156
	ds_read2_b32 v[50:51], v45 offset0:56 offset1:212
	s_waitcnt vmcnt(3) lgkmcnt(3)
	v_mul_f32_e32 v58, v28, v8
	v_mul_f32_e32 v59, v43, v8
	s_waitcnt lgkmcnt(2)
	v_mul_f32_e32 v8, v30, v10
	v_mul_f32_e32 v60, v41, v10
	v_fma_f32 v43, v43, v7, -v58
	v_fmac_f32_e32 v59, v28, v7
	v_fma_f32 v28, v41, v9, -v8
	v_fmac_f32_e32 v60, v30, v9
	ds_read2_b32 v[7:8], v46 offset0:40 offset1:196
	ds_read2_b32 v[9:10], v47 offset0:24 offset1:180
	s_waitcnt vmcnt(0) lgkmcnt(0)
	s_barrier
	v_mul_f32_e32 v30, v29, v12
	v_mul_f32_e32 v12, v44, v12
	v_fma_f32 v30, v44, v11, -v30
	v_mul_f32_e32 v41, v31, v14
	v_fmac_f32_e32 v12, v29, v11
	v_mul_f32_e32 v11, v42, v14
	v_fma_f32 v29, v42, v13, -v41
	v_mul_f32_e32 v14, v7, v16
	v_mul_f32_e32 v16, v37, v16
	;; [unrolled: 1-line block ×3, first 2 shown]
	v_fmac_f32_e32 v11, v31, v13
	v_mul_f32_e32 v13, v39, v18
	v_mul_f32_e32 v18, v8, v25
	v_mul_f32_e32 v25, v38, v25
	v_mul_f32_e32 v31, v10, v27
	v_mul_f32_e32 v27, v40, v27
	v_fma_f32 v14, v37, v15, -v14
	v_fmac_f32_e32 v16, v7, v15
	v_fmac_f32_e32 v13, v9, v17
	v_fma_f32 v9, v38, v24, -v18
	v_fmac_f32_e32 v25, v8, v24
	v_add_f32_e32 v15, v43, v28
	v_add_f32_e32 v24, v59, v60
	v_fmac_f32_e32 v27, v10, v26
	v_add_f32_e32 v10, v35, v43
	v_add_f32_e32 v37, v30, v29
	v_fma_f32 v15, -0.5, v15, v35
	v_fma_f32 v38, -0.5, v24, v48
	v_fma_f32 v7, v39, v17, -v41
	v_fma_f32 v8, v40, v26, -v31
	v_sub_f32_e32 v17, v59, v60
	v_sub_f32_e32 v26, v43, v28
	v_add_f32_e32 v31, v36, v30
	v_add_f32_e32 v10, v10, v28
	v_fmac_f32_e32 v36, -0.5, v37
	v_mov_b32_e32 v28, v15
	v_mov_b32_e32 v37, v38
	v_fmac_f32_e32 v15, 0xbf5db3d7, v17
	v_fmac_f32_e32 v38, 0x3f5db3d7, v26
	v_fmac_f32_e32 v28, 0x3f5db3d7, v17
	v_fmac_f32_e32 v37, 0xbf5db3d7, v26
	v_sub_f32_e32 v17, v12, v11
	v_mov_b32_e32 v26, v36
	v_fmac_f32_e32 v26, 0x3f5db3d7, v17
	v_fmac_f32_e32 v36, 0xbf5db3d7, v17
	v_add_f32_e32 v17, v49, v12
	v_add_f32_e32 v17, v17, v11
	;; [unrolled: 1-line block ×4, first 2 shown]
	v_fmac_f32_e32 v49, -0.5, v11
	v_sub_f32_e32 v11, v30, v29
	v_add_f32_e32 v29, v14, v7
	v_fma_f32 v29, -0.5, v29, v33
	v_sub_f32_e32 v30, v16, v13
	v_mov_b32_e32 v31, v29
	v_fmac_f32_e32 v31, 0x3f5db3d7, v30
	v_fmac_f32_e32 v29, 0xbf5db3d7, v30
	v_add_f32_e32 v30, v50, v16
	v_mov_b32_e32 v12, v49
	v_add_f32_e32 v39, v30, v13
	v_add_f32_e32 v13, v16, v13
	v_fmac_f32_e32 v12, 0xbf5db3d7, v11
	v_fmac_f32_e32 v49, 0x3f5db3d7, v11
	v_add_f32_e32 v11, v33, v14
	v_fma_f32 v13, -0.5, v13, v50
	v_add_f32_e32 v11, v11, v7
	v_sub_f32_e32 v7, v14, v7
	v_mov_b32_e32 v14, v13
	v_add_f32_e32 v16, v9, v8
	v_fmac_f32_e32 v14, 0xbf5db3d7, v7
	v_fmac_f32_e32 v13, 0x3f5db3d7, v7
	v_add_f32_e32 v7, v34, v9
	v_fmac_f32_e32 v34, -0.5, v16
	v_sub_f32_e32 v16, v25, v27
	v_mov_b32_e32 v30, v34
	v_fmac_f32_e32 v30, 0x3f5db3d7, v16
	v_fmac_f32_e32 v34, 0xbf5db3d7, v16
	v_add_f32_e32 v16, v51, v25
	v_add_f32_e32 v25, v25, v27
	v_fmac_f32_e32 v51, -0.5, v25
	v_add_f32_e32 v7, v7, v8
	v_sub_f32_e32 v8, v9, v8
	v_mov_b32_e32 v9, v51
	v_fmac_f32_e32 v9, 0xbf5db3d7, v8
	v_fmac_f32_e32 v51, 0x3f5db3d7, v8
	v_mul_u32_u24_e32 v8, 0x9c, v22
	v_mov_b32_e32 v22, 2
	v_lshlrev_b32_sdwa v25, v22, v32 dst_sel:DWORD dst_unused:UNUSED_PAD src0_sel:DWORD src1_sel:BYTE_0
	v_add3_u32 v8, 0, v8, v25
	ds_write2_b32 v8, v10, v28 offset1:13
	ds_write_b32 v8, v15 offset:104
	v_mul_u32_u24_e32 v10, 0x9c, v52
	v_lshlrev_b32_e32 v15, 2, v53
	v_add3_u32 v10, 0, v10, v15
	ds_write2_b32 v10, v24, v26 offset1:13
	ds_write_b32 v10, v36 offset:104
	v_mul_u32_u24_e32 v15, 0x9c, v54
	v_lshlrev_b32_e32 v24, 2, v55
	;; [unrolled: 5-line block ×3, first 2 shown]
	v_add_f32_e32 v18, v48, v59
	v_add3_u32 v11, 0, v11, v24
	v_add_f32_e32 v18, v18, v60
	ds_write2_b32 v11, v7, v30 offset1:13
	ds_write_b32 v11, v34 offset:104
	v_mul_lo_u16_sdwa v7, v3, s2 dst_sel:DWORD dst_unused:UNUSED_PAD src0_sel:BYTE_0 src1_sel:DWORD
	v_add_f32_e32 v16, v16, v27
	s_waitcnt lgkmcnt(0)
	s_barrier
	ds_read2_b32 v[24:25], v0 offset1:156
	ds_read2_b32 v[26:27], v45 offset0:56 offset1:212
	ds_read2_b32 v[28:29], v46 offset0:40 offset1:196
	;; [unrolled: 1-line block ×5, first 2 shown]
	s_waitcnt lgkmcnt(0)
	s_barrier
	ds_write2_b32 v8, v18, v37 offset1:13
	ds_write_b32 v8, v38 offset:104
	ds_write2_b32 v10, v17, v12 offset1:13
	ds_write_b32 v10, v49 offset:104
	;; [unrolled: 2-line block ×4, first 2 shown]
	v_sub_u16_sdwa v8, v3, v7 dst_sel:DWORD dst_unused:UNUSED_PAD src0_sel:DWORD src1_sel:BYTE_1
	v_lshrrev_b16_e32 v8, 1, v8
	v_and_b32_e32 v8, 0x7f, v8
	v_add_u16_sdwa v7, v8, v7 dst_sel:DWORD dst_unused:UNUSED_PAD src0_sel:DWORD src1_sel:BYTE_1
	v_lshrrev_b16_e32 v7, 5, v7
	v_and_b32_e32 v44, 7, v7
	v_mul_lo_u16_e32 v7, 39, v44
	v_sub_u16_e32 v54, v3, v7
	v_mov_b32_e32 v7, 3
	v_mul_u32_u24_sdwa v7, v54, v7 dst_sel:DWORD dst_unused:UNUSED_PAD src0_sel:BYTE_0 src1_sel:DWORD
	v_lshlrev_b32_e32 v11, 3, v7
	s_mov_b32 s2, 0xa41b
	s_waitcnt lgkmcnt(0)
	s_barrier
	global_load_dwordx4 v[7:10], v11, s[12:13] offset:208
	global_load_dwordx2 v[36:37], v11, s[12:13] offset:224
	v_mul_u32_u24_sdwa v11, v21, s2 dst_sel:DWORD dst_unused:UNUSED_PAD src0_sel:WORD_0 src1_sel:DWORD
	v_sub_u16_sdwa v12, v21, v11 dst_sel:DWORD dst_unused:UNUSED_PAD src0_sel:DWORD src1_sel:WORD_1
	v_lshrrev_b16_e32 v12, 1, v12
	v_add_u16_sdwa v11, v12, v11 dst_sel:DWORD dst_unused:UNUSED_PAD src0_sel:DWORD src1_sel:WORD_1
	v_lshrrev_b16_e32 v55, 5, v11
	v_mul_lo_u16_e32 v11, 39, v55
	v_sub_u16_e32 v56, v21, v11
	v_mul_u32_u24_e32 v11, 3, v56
	v_lshlrev_b32_e32 v15, 3, v11
	global_load_dwordx4 v[11:14], v15, s[12:13] offset:208
	global_load_dwordx2 v[38:39], v15, s[12:13] offset:224
	v_mul_u32_u24_sdwa v15, v20, s2 dst_sel:DWORD dst_unused:UNUSED_PAD src0_sel:WORD_0 src1_sel:DWORD
	v_sub_u16_sdwa v16, v20, v15 dst_sel:DWORD dst_unused:UNUSED_PAD src0_sel:DWORD src1_sel:WORD_1
	v_lshrrev_b16_e32 v16, 1, v16
	v_add_u16_sdwa v15, v16, v15 dst_sel:DWORD dst_unused:UNUSED_PAD src0_sel:DWORD src1_sel:WORD_1
	v_lshrrev_b16_e32 v57, 5, v15
	v_mul_lo_u16_e32 v15, 39, v57
	v_sub_u16_e32 v58, v20, v15
	v_mul_u32_u24_e32 v15, 3, v58
	v_lshlrev_b32_e32 v42, 3, v15
	global_load_dwordx4 v[15:18], v42, s[12:13] offset:208
	global_load_dwordx2 v[40:41], v42, s[12:13] offset:224
	ds_read2_b32 v[42:43], v45 offset0:56 offset1:212
	ds_read2_b32 v[48:49], v0 offset1:156
	ds_read2_b32 v[50:51], v46 offset0:40 offset1:196
	ds_read2_b32 v[52:53], v23 offset0:96 offset1:252
	s_movk_i32 s2, 0x270
	s_waitcnt vmcnt(5) lgkmcnt(3)
	v_mul_f32_e32 v59, v43, v8
	v_fma_f32 v59, v27, v7, -v59
	v_mul_f32_e32 v27, v27, v8
	v_fmac_f32_e32 v27, v43, v7
	s_waitcnt lgkmcnt(1)
	v_mul_f32_e32 v7, v50, v10
	v_fma_f32 v43, v28, v9, -v7
	v_mul_f32_e32 v28, v28, v10
	v_fmac_f32_e32 v28, v50, v9
	ds_read2_b32 v[7:8], v4 offset0:48 offset1:204
	s_waitcnt vmcnt(4) lgkmcnt(1)
	v_mul_f32_e32 v9, v53, v37
	v_fma_f32 v50, v31, v36, -v9
	v_mul_f32_e32 v31, v31, v37
	s_waitcnt vmcnt(3)
	v_mul_f32_e32 v9, v51, v14
	v_fmac_f32_e32 v31, v53, v36
	v_fma_f32 v36, v29, v13, -v9
	ds_read2_b32 v[9:10], v47 offset0:24 offset1:180
	v_mul_f32_e32 v14, v29, v14
	v_fmac_f32_e32 v14, v51, v13
	s_waitcnt lgkmcnt(1)
	v_mul_f32_e32 v13, v7, v12
	v_mul_f32_e32 v12, v32, v12
	v_fma_f32 v13, v32, v11, -v13
	v_fmac_f32_e32 v12, v7, v11
	s_waitcnt vmcnt(2)
	v_mul_f32_e32 v11, v34, v39
	s_waitcnt lgkmcnt(0)
	v_mul_f32_e32 v7, v9, v39
	v_fmac_f32_e32 v11, v9, v38
	s_waitcnt vmcnt(1)
	v_mul_f32_e32 v9, v8, v16
	v_mul_f32_e32 v16, v33, v16
	v_fma_f32 v9, v33, v15, -v9
	v_fmac_f32_e32 v16, v8, v15
	v_mul_f32_e32 v8, v52, v18
	v_mul_f32_e32 v15, v30, v18
	v_sub_f32_e32 v28, v48, v28
	v_sub_f32_e32 v31, v27, v31
	v_fma_f32 v8, v30, v17, -v8
	v_fmac_f32_e32 v15, v52, v17
	s_waitcnt vmcnt(0)
	v_mul_f32_e32 v17, v10, v41
	v_fma_f32 v29, v48, 2.0, -v28
	v_fma_f32 v27, v27, 2.0, -v31
	v_fma_f32 v17, v35, v40, -v17
	v_mul_f32_e32 v18, v35, v41
	v_sub_f32_e32 v33, v29, v27
	v_sub_f32_e32 v14, v49, v14
	;; [unrolled: 1-line block ×3, first 2 shown]
	v_fma_f32 v7, v34, v38, -v7
	v_fmac_f32_e32 v18, v10, v40
	v_sub_f32_e32 v10, v24, v43
	v_sub_f32_e32 v30, v59, v50
	v_fma_f32 v34, v29, 2.0, -v33
	v_fma_f32 v29, v49, 2.0, -v14
	;; [unrolled: 1-line block ×3, first 2 shown]
	v_sub_f32_e32 v15, v42, v15
	v_sub_f32_e32 v17, v9, v17
	v_fma_f32 v24, v24, 2.0, -v10
	v_fma_f32 v32, v59, 2.0, -v30
	v_add_f32_e32 v35, v28, v30
	v_sub_f32_e32 v12, v29, v12
	v_add_f32_e32 v40, v15, v17
	v_sub_f32_e32 v32, v24, v32
	v_sub_f32_e32 v27, v10, v31
	v_fma_f32 v37, v28, 2.0, -v35
	v_sub_f32_e32 v28, v25, v36
	v_sub_f32_e32 v7, v13, v7
	v_fma_f32 v36, v29, 2.0, -v12
	v_fma_f32 v29, v42, 2.0, -v15
	;; [unrolled: 1-line block ×4, first 2 shown]
	v_mul_u32_u24_sdwa v15, v44, s2 dst_sel:DWORD dst_unused:UNUSED_PAD src0_sel:WORD_0 src1_sel:DWORD
	v_lshlrev_b32_sdwa v17, v22, v54 dst_sel:DWORD dst_unused:UNUSED_PAD src0_sel:DWORD src1_sel:BYTE_0
	v_fma_f32 v24, v24, 2.0, -v32
	v_fma_f32 v10, v10, 2.0, -v27
	;; [unrolled: 1-line block ×4, first 2 shown]
	v_add3_u32 v22, 0, v15, v17
	v_sub_f32_e32 v13, v25, v13
	v_sub_f32_e32 v11, v28, v11
	;; [unrolled: 1-line block ×3, first 2 shown]
	s_barrier
	ds_write2_b32 v22, v24, v10 offset1:39
	ds_write2_b32 v22, v32, v27 offset0:78 offset1:117
	v_mul_u32_u24_e32 v10, 0x270, v55
	v_lshlrev_b32_e32 v15, 2, v56
	v_fma_f32 v25, v25, 2.0, -v13
	v_fma_f32 v28, v28, 2.0, -v11
	;; [unrolled: 1-line block ×3, first 2 shown]
	v_sub_f32_e32 v18, v16, v18
	v_add3_u32 v10, 0, v10, v15
	v_fma_f32 v16, v16, 2.0, -v18
	v_sub_f32_e32 v9, v26, v9
	v_sub_f32_e32 v18, v8, v18
	ds_write2_b32 v10, v25, v28 offset1:39
	ds_write2_b32 v10, v13, v11 offset0:78 offset1:117
	v_mul_u32_u24_e32 v11, 0x270, v57
	v_lshlrev_b32_e32 v13, 2, v58
	v_add_f32_e32 v7, v14, v7
	v_sub_f32_e32 v38, v29, v16
	v_fma_f32 v16, v26, 2.0, -v9
	v_fma_f32 v8, v8, 2.0, -v18
	v_add3_u32 v11, 0, v11, v13
	v_fma_f32 v14, v14, 2.0, -v7
	v_fma_f32 v39, v29, 2.0, -v38
	ds_write2_b32 v11, v16, v8 offset1:39
	ds_write2_b32 v11, v9, v18 offset0:78 offset1:117
	s_waitcnt lgkmcnt(0)
	s_barrier
	ds_read2_b32 v[15:16], v0 offset1:156
	ds_read2_b32 v[17:18], v45 offset0:56 offset1:212
	ds_read2_b32 v[24:25], v4 offset0:48 offset1:204
	;; [unrolled: 1-line block ×5, first 2 shown]
	s_waitcnt lgkmcnt(0)
	s_barrier
	ds_write2_b32 v22, v34, v37 offset1:39
	ds_write2_b32 v22, v33, v35 offset0:78 offset1:117
	ds_write2_b32 v10, v36, v14 offset1:39
	ds_write2_b32 v10, v12, v7 offset0:78 offset1:117
	;; [unrolled: 2-line block ×3, first 2 shown]
	v_mul_u32_u24_e32 v7, 5, v3
	v_lshlrev_b32_e32 v22, 3, v7
	s_waitcnt lgkmcnt(0)
	s_barrier
	global_load_dwordx4 v[7:10], v22, s[12:13] offset:1144
	global_load_dwordx4 v[11:14], v22, s[12:13] offset:1160
	global_load_dwordx2 v[32:33], v22, s[12:13] offset:1176
	ds_read2_b32 v[34:35], v0 offset1:156
	ds_read2_b32 v[36:37], v45 offset0:56 offset1:212
	ds_read2_b32 v[38:39], v4 offset0:48 offset1:204
	;; [unrolled: 1-line block ×5, first 2 shown]
	s_waitcnt vmcnt(0) lgkmcnt(0)
	s_barrier
	v_mul_f32_e32 v22, v36, v8
	v_fma_f32 v22, v17, v7, -v22
	v_mul_f32_e32 v17, v17, v8
	v_fmac_f32_e32 v17, v36, v7
	v_mul_f32_e32 v36, v38, v10
	v_fma_f32 v36, v24, v9, -v36
	v_mul_f32_e32 v24, v24, v10
	v_fmac_f32_e32 v24, v38, v9
	v_mul_f32_e32 v38, v40, v12
	v_fma_f32 v38, v26, v11, -v38
	v_mul_f32_e32 v26, v26, v12
	v_mul_f32_e32 v44, v37, v8
	;; [unrolled: 1-line block ×3, first 2 shown]
	v_fmac_f32_e32 v26, v40, v11
	v_mul_f32_e32 v40, v42, v14
	v_fma_f32 v44, v18, v7, -v44
	v_fmac_f32_e32 v8, v37, v7
	v_mul_f32_e32 v7, v39, v10
	v_mul_f32_e32 v10, v25, v10
	v_fma_f32 v40, v28, v13, -v40
	v_fma_f32 v7, v25, v9, -v7
	v_fmac_f32_e32 v10, v39, v9
	v_mul_f32_e32 v9, v41, v12
	v_mul_f32_e32 v28, v28, v14
	v_fma_f32 v9, v27, v11, -v9
	v_mul_f32_e32 v12, v27, v12
	v_add_f32_e32 v27, v36, v40
	v_fmac_f32_e32 v28, v42, v13
	v_fmac_f32_e32 v12, v41, v11
	v_mul_f32_e32 v11, v43, v14
	v_add_f32_e32 v25, v15, v36
	v_fma_f32 v15, -0.5, v27, v15
	v_fma_f32 v11, v29, v13, -v11
	v_mul_f32_e32 v14, v29, v14
	v_sub_f32_e32 v27, v24, v28
	v_mov_b32_e32 v29, v15
	v_mul_f32_e32 v42, v48, v33
	v_fmac_f32_e32 v29, 0x3f5db3d7, v27
	v_fmac_f32_e32 v15, 0xbf5db3d7, v27
	v_add_f32_e32 v27, v34, v24
	v_add_f32_e32 v24, v24, v28
	v_fma_f32 v42, v30, v32, -v42
	v_mul_f32_e32 v30, v30, v33
	v_fmac_f32_e32 v14, v43, v13
	v_mul_f32_e32 v13, v49, v33
	v_mul_f32_e32 v18, v31, v33
	v_fma_f32 v24, -0.5, v24, v34
	v_fmac_f32_e32 v30, v48, v32
	v_fma_f32 v13, v31, v32, -v13
	v_fmac_f32_e32 v18, v49, v32
	v_add_f32_e32 v27, v27, v28
	v_sub_f32_e32 v28, v36, v40
	v_mov_b32_e32 v31, v24
	v_add_f32_e32 v32, v38, v42
	v_fmac_f32_e32 v31, 0xbf5db3d7, v28
	v_fmac_f32_e32 v24, 0x3f5db3d7, v28
	v_add_f32_e32 v28, v22, v38
	v_fmac_f32_e32 v22, -0.5, v32
	v_sub_f32_e32 v32, v26, v30
	v_mov_b32_e32 v33, v22
	v_fmac_f32_e32 v33, 0x3f5db3d7, v32
	v_fmac_f32_e32 v22, 0xbf5db3d7, v32
	v_add_f32_e32 v32, v17, v26
	v_add_f32_e32 v26, v26, v30
	v_fmac_f32_e32 v17, -0.5, v26
	v_add_f32_e32 v32, v32, v30
	v_sub_f32_e32 v26, v38, v42
	v_mov_b32_e32 v30, v17
	v_fmac_f32_e32 v30, 0xbf5db3d7, v26
	v_mul_f32_e32 v34, 0x3f5db3d7, v30
	v_fmac_f32_e32 v17, 0x3f5db3d7, v26
	v_fmac_f32_e32 v34, 0.5, v33
	v_mul_f32_e32 v37, -0.5, v22
	v_mul_f32_e32 v33, 0xbf5db3d7, v33
	v_add_f32_e32 v25, v25, v40
	v_add_f32_e32 v28, v28, v42
	v_fmac_f32_e32 v37, 0x3f5db3d7, v17
	v_fmac_f32_e32 v33, 0.5, v30
	v_mul_f32_e32 v17, -0.5, v17
	v_add_f32_e32 v26, v25, v28
	v_add_f32_e32 v36, v29, v34
	;; [unrolled: 1-line block ×3, first 2 shown]
	v_fmac_f32_e32 v17, 0xbf5db3d7, v22
	v_sub_f32_e32 v25, v25, v28
	v_sub_f32_e32 v28, v29, v34
	;; [unrolled: 1-line block ×3, first 2 shown]
	v_add_f32_e32 v31, v7, v11
	v_add_f32_e32 v22, v24, v17
	v_sub_f32_e32 v24, v24, v17
	v_add_f32_e32 v17, v16, v7
	v_fmac_f32_e32 v16, -0.5, v31
	v_add_f32_e32 v39, v27, v32
	v_sub_f32_e32 v27, v27, v32
	v_sub_f32_e32 v31, v10, v14
	v_mov_b32_e32 v32, v16
	v_fmac_f32_e32 v32, 0x3f5db3d7, v31
	v_fmac_f32_e32 v16, 0xbf5db3d7, v31
	v_add_f32_e32 v31, v35, v10
	v_add_f32_e32 v10, v10, v14
	v_fmac_f32_e32 v35, -0.5, v10
	v_add_f32_e32 v17, v17, v11
	v_sub_f32_e32 v7, v7, v11
	v_mov_b32_e32 v10, v35
	v_add_f32_e32 v11, v9, v13
	v_fmac_f32_e32 v10, 0xbf5db3d7, v7
	v_fmac_f32_e32 v35, 0x3f5db3d7, v7
	v_add_f32_e32 v7, v44, v9
	v_fmac_f32_e32 v44, -0.5, v11
	v_add_f32_e32 v31, v31, v14
	v_sub_f32_e32 v11, v12, v18
	v_mov_b32_e32 v14, v44
	v_fmac_f32_e32 v14, 0x3f5db3d7, v11
	v_fmac_f32_e32 v44, 0xbf5db3d7, v11
	v_add_f32_e32 v11, v8, v12
	v_add_f32_e32 v12, v12, v18
	v_fmac_f32_e32 v8, -0.5, v12
	v_sub_f32_e32 v9, v9, v13
	v_mov_b32_e32 v12, v8
	v_fmac_f32_e32 v12, 0xbf5db3d7, v9
	v_add_f32_e32 v7, v7, v13
	v_fmac_f32_e32 v8, 0x3f5db3d7, v9
	v_mul_f32_e32 v13, 0x3f5db3d7, v12
	v_mul_f32_e32 v33, -0.5, v44
	v_fmac_f32_e32 v13, 0.5, v14
	v_fmac_f32_e32 v33, 0x3f5db3d7, v8
	v_mul_f32_e32 v14, 0xbf5db3d7, v14
	v_mul_f32_e32 v8, -0.5, v8
	v_add_f32_e32 v38, v15, v37
	v_sub_f32_e32 v15, v15, v37
	v_add_f32_e32 v11, v11, v18
	v_add_f32_e32 v9, v17, v7
	;; [unrolled: 1-line block ×3, first 2 shown]
	v_fmac_f32_e32 v14, 0.5, v12
	v_fmac_f32_e32 v8, 0xbf5db3d7, v44
	v_sub_f32_e32 v7, v17, v7
	v_sub_f32_e32 v12, v32, v13
	;; [unrolled: 1-line block ×3, first 2 shown]
	v_add_f32_e32 v34, v16, v33
	v_add_f32_e32 v37, v31, v11
	;; [unrolled: 1-line block ×4, first 2 shown]
	v_sub_f32_e32 v31, v31, v11
	v_sub_f32_e32 v32, v10, v14
	;; [unrolled: 1-line block ×3, first 2 shown]
	ds_write2_b32 v0, v26, v36 offset1:156
	ds_write2_b32 v45, v38, v25 offset0:56 offset1:212
	ds_write2_b32 v4, v28, v15 offset0:48 offset1:204
	;; [unrolled: 1-line block ×5, first 2 shown]
	s_waitcnt lgkmcnt(0)
	s_barrier
	ds_read2_b32 v[7:8], v0 offset1:156
	ds_read2_b32 v[9:10], v46 offset0:40 offset1:196
	ds_read2_b32 v[11:12], v45 offset0:56 offset1:212
	;; [unrolled: 1-line block ×5, first 2 shown]
	s_waitcnt lgkmcnt(0)
	s_barrier
	ds_write2_b32 v0, v39, v30 offset1:156
	ds_write2_b32 v45, v22, v27 offset0:56 offset1:212
	ds_write2_b32 v4, v29, v24 offset0:48 offset1:204
	;; [unrolled: 1-line block ×5, first 2 shown]
	s_waitcnt lgkmcnt(0)
	s_barrier
	s_and_saveexec_b64 s[2:3], vcc
	s_cbranch_execz .LBB0_17
; %bb.16:
	v_add_u32_e32 v22, 0x30c, v3
	v_mov_b32_e32 v23, 0
	v_lshlrev_b64 v[25:26], 3, v[22:23]
	v_mov_b32_e32 v34, s13
	v_add_co_u32_e32 v4, vcc, s12, v25
	v_addc_co_u32_e32 v25, vcc, v34, v26, vcc
	s_movk_i32 s2, 0x1000
	v_add_co_u32_e32 v26, vcc, s2, v4
	v_add_u32_e32 v24, 0x270, v3
	v_addc_co_u32_e32 v27, vcc, 0, v25, vcc
	v_mov_b32_e32 v25, v23
	v_lshlrev_b64 v[28:29], 3, v[24:25]
	s_movk_i32 s3, 0x2000
	v_add_co_u32_e32 v4, vcc, s12, v28
	v_addc_co_u32_e32 v25, vcc, v34, v29, vcc
	v_add_co_u32_e32 v28, vcc, s2, v4
	v_mov_b32_e32 v4, v23
	v_addc_co_u32_e32 v29, vcc, 0, v25, vcc
	global_load_dwordx2 v[30:31], v[26:27], off offset:3288
	global_load_dwordx2 v[32:33], v[28:29], off offset:3288
	v_lshlrev_b64 v[25:26], 3, v[3:4]
	v_mul_lo_u32 v6, s0, v6
	v_add_co_u32_e32 v4, vcc, s12, v25
	v_addc_co_u32_e32 v23, vcc, v34, v26, vcc
	v_add_co_u32_e32 v25, vcc, s3, v4
	v_addc_co_u32_e32 v26, vcc, 0, v23, vcc
	global_load_dwordx2 v[27:28], v[25:26], off offset:2936
	global_load_dwordx2 v[34:35], v[25:26], off offset:1688
	;; [unrolled: 1-line block ×3, first 2 shown]
	v_add_co_u32_e32 v25, vcc, s2, v4
	v_addc_co_u32_e32 v26, vcc, 0, v23, vcc
	global_load_dwordx2 v[25:26], v[25:26], off offset:3288
	v_mul_lo_u32 v23, s1, v5
	v_mad_u64_u32 v[4:5], s[0:1], s0, v5, 0
	v_add_u32_e32 v29, 0x900, v0
	v_add_u32_e32 v40, 0x1800, v0
	;; [unrolled: 1-line block ×5, first 2 shown]
	ds_read2_b32 v[38:39], v29 offset0:48 offset1:204
	ds_read2_b32 v[40:41], v40 offset0:24 offset1:180
	ds_read2_b32 v[42:43], v42 offset0:56 offset1:212
	ds_read2_b32 v[44:45], v44 offset0:96 offset1:252
	ds_read2_b32 v[46:47], v46 offset0:40 offset1:196
	v_add3_u32 v5, v5, v6, v23
	v_lshlrev_b64 v[4:5], 3, v[4:5]
	s_mov_b32 s3, 0x8c08c09
	v_add_co_u32_e32 v4, vcc, s10, v4
	s_movk_i32 s2, 0x3a8
	s_waitcnt vmcnt(5)
	v_mul_f32_e32 v6, v18, v31
	s_waitcnt lgkmcnt(3)
	v_mul_f32_e32 v23, v41, v31
	v_fmac_f32_e32 v6, v41, v30
	v_fma_f32 v18, v18, v30, -v23
	s_waitcnt vmcnt(4)
	v_mul_f32_e32 v23, v17, v33
	v_mul_f32_e32 v30, v40, v33
	v_fmac_f32_e32 v23, v40, v32
	v_sub_f32_e32 v29, v39, v6
	v_fma_f32 v6, v17, v32, -v30
	v_sub_f32_e32 v17, v38, v23
	s_waitcnt vmcnt(3) lgkmcnt(1)
	v_mul_f32_e32 v33, v45, v28
	s_waitcnt vmcnt(2)
	v_mul_f32_e32 v41, v15, v35
	v_fmac_f32_e32 v41, v44, v34
	v_mul_f32_e32 v31, v16, v28
	v_sub_f32_e32 v28, v14, v18
	v_fma_f32 v18, v16, v27, -v33
	v_sub_f32_e32 v33, v42, v41
	ds_read2_b32 v[40:41], v0 offset1:156
	v_mul_f32_e32 v35, v44, v35
	v_fmac_f32_e32 v31, v45, v27
	v_fma_f32 v27, v15, v34, -v35
	s_waitcnt vmcnt(1)
	v_mul_f32_e32 v0, v10, v37
	v_sub_f32_e32 v32, v11, v27
	s_waitcnt lgkmcnt(1)
	v_fmac_f32_e32 v0, v47, v36
	v_fma_f32 v35, v38, 2.0, -v17
	v_fma_f32 v38, v11, 2.0, -v32
	s_waitcnt lgkmcnt(0)
	v_sub_f32_e32 v11, v41, v0
	v_mul_f32_e32 v0, v47, v37
	v_fma_f32 v0, v10, v36, -v0
	v_mad_u64_u32 v[36:37], s[0:1], s20, v3, 0
	v_sub_f32_e32 v10, v8, v0
	s_waitcnt vmcnt(0)
	v_mul_f32_e32 v0, v9, v26
	v_fmac_f32_e32 v0, v46, v25
	v_sub_f32_e32 v16, v13, v6
	v_sub_f32_e32 v31, v43, v31
	;; [unrolled: 1-line block ×3, first 2 shown]
	v_mul_f32_e32 v6, v46, v26
	v_mov_b32_e32 v0, v37
	v_fma_f32 v34, v13, 2.0, -v16
	v_fma_f32 v13, v43, 2.0, -v31
	v_mad_u64_u32 v[43:44], s[0:1], s21, v3, v[0:1]
	v_fma_f32 v0, v9, v25, -v6
	v_sub_f32_e32 v26, v7, v0
	v_mov_b32_e32 v0, s11
	v_addc_co_u32_e32 v5, vcc, v0, v5, vcc
	v_lshlrev_b64 v[0:1], 3, v[1:2]
	v_mov_b32_e32 v37, v43
	v_add_co_u32_e32 v9, vcc, v4, v0
	v_add_u32_e32 v2, 0x3a8, v3
	v_sub_f32_e32 v30, v12, v18
	v_addc_co_u32_e32 v18, vcc, v5, v1, vcc
	v_lshlrev_b64 v[0:1], 3, v[36:37]
	v_mad_u64_u32 v[4:5], s[0:1], s20, v2, 0
	v_add_co_u32_e32 v0, vcc, v9, v0
	v_fma_f32 v15, v39, 2.0, -v29
	v_fma_f32 v39, v42, 2.0, -v33
	;; [unrolled: 1-line block ×6, first 2 shown]
	v_addc_co_u32_e32 v1, vcc, v18, v1, vcc
	global_store_dwordx2 v[0:1], v[7:8], off
	v_mov_b32_e32 v0, v5
	v_mad_u64_u32 v[0:1], s[0:1], s21, v2, v[0:1]
	v_mad_u64_u32 v[1:2], s[0:1], s20, v21, 0
	v_mov_b32_e32 v5, v0
	v_lshlrev_b64 v[4:5], 3, v[4:5]
	v_mov_b32_e32 v0, v2
	v_mad_u64_u32 v[6:7], s[0:1], s21, v21, v[0:1]
	v_add_co_u32_e32 v4, vcc, v9, v4
	v_addc_co_u32_e32 v5, vcc, v18, v5, vcc
	global_store_dwordx2 v[4:5], v[26:27], off
	v_mov_b32_e32 v2, v6
	v_add_u32_e32 v4, 0x444, v3
	v_lshlrev_b64 v[0:1], 3, v[1:2]
	v_mad_u64_u32 v[2:3], s[0:1], s20, v4, 0
	v_lshrrev_b32_e32 v5, 3, v20
	v_mul_hi_u32 v5, v5, s3
	v_mad_u64_u32 v[3:4], s[0:1], s21, v4, v[3:4]
	v_add_co_u32_e32 v0, vcc, v9, v0
	v_lshrrev_b32_e32 v4, 2, v5
	v_mad_u32_u24 v6, v4, s2, v20
	v_mad_u64_u32 v[4:5], s[0:1], s20, v6, 0
	v_addc_co_u32_e32 v1, vcc, v18, v1, vcc
	global_store_dwordx2 v[0:1], v[41:42], off
	v_lshlrev_b64 v[0:1], 3, v[2:3]
	v_mov_b32_e32 v2, v5
	v_mad_u64_u32 v[2:3], s[0:1], s21, v6, v[2:3]
	v_add_co_u32_e32 v0, vcc, v9, v0
	v_addc_co_u32_e32 v1, vcc, v18, v1, vcc
	v_mov_b32_e32 v5, v2
	global_store_dwordx2 v[0:1], v[10:11], off
	v_lshlrev_b64 v[0:1], 3, v[4:5]
	v_add_u32_e32 v4, 0x3a8, v6
	v_mad_u64_u32 v[2:3], s[0:1], s20, v4, 0
	v_lshrrev_b32_e32 v5, 3, v19
	v_mul_hi_u32 v5, v5, s3
	v_mad_u64_u32 v[3:4], s[0:1], s21, v4, v[3:4]
	v_add_co_u32_e32 v0, vcc, v9, v0
	v_lshrrev_b32_e32 v4, 2, v5
	v_mad_u32_u24 v6, v4, s2, v19
	v_mad_u64_u32 v[4:5], s[0:1], s20, v6, 0
	v_addc_co_u32_e32 v1, vcc, v18, v1, vcc
	global_store_dwordx2 v[0:1], v[38:39], off
	v_lshlrev_b64 v[0:1], 3, v[2:3]
	v_mov_b32_e32 v2, v5
	v_mad_u64_u32 v[2:3], s[0:1], s21, v6, v[2:3]
	v_add_co_u32_e32 v0, vcc, v9, v0
	v_addc_co_u32_e32 v1, vcc, v18, v1, vcc
	v_mov_b32_e32 v5, v2
	global_store_dwordx2 v[0:1], v[32:33], off
	v_lshlrev_b64 v[0:1], 3, v[4:5]
	v_add_u32_e32 v4, 0x3a8, v6
	v_mad_u64_u32 v[2:3], s[0:1], s20, v4, 0
	v_lshrrev_b32_e32 v5, 3, v24
	v_mul_hi_u32 v5, v5, s3
	v_mad_u64_u32 v[3:4], s[0:1], s21, v4, v[3:4]
	v_add_co_u32_e32 v0, vcc, v9, v0
	v_lshrrev_b32_e32 v4, 2, v5
	v_mad_u32_u24 v6, v4, s2, v24
	v_mad_u64_u32 v[4:5], s[0:1], s20, v6, 0
	v_fma_f32 v12, v12, 2.0, -v30
	v_addc_co_u32_e32 v1, vcc, v18, v1, vcc
	global_store_dwordx2 v[0:1], v[12:13], off
	v_lshlrev_b64 v[0:1], 3, v[2:3]
	v_mov_b32_e32 v2, v5
	v_mad_u64_u32 v[2:3], s[0:1], s21, v6, v[2:3]
	v_add_co_u32_e32 v0, vcc, v9, v0
	v_addc_co_u32_e32 v1, vcc, v18, v1, vcc
	v_mov_b32_e32 v5, v2
	global_store_dwordx2 v[0:1], v[30:31], off
	v_lshlrev_b64 v[0:1], 3, v[4:5]
	v_add_u32_e32 v4, 0x3a8, v6
	v_mad_u64_u32 v[2:3], s[0:1], s20, v4, 0
	v_add_co_u32_e32 v0, vcc, v9, v0
	v_mad_u64_u32 v[3:4], s[0:1], s21, v4, v[3:4]
	v_lshrrev_b32_e32 v4, 3, v22
	v_mul_hi_u32 v4, v4, s3
	v_addc_co_u32_e32 v1, vcc, v18, v1, vcc
	global_store_dwordx2 v[0:1], v[34:35], off
	v_lshlrev_b64 v[0:1], 3, v[2:3]
	v_lshrrev_b32_e32 v2, 2, v4
	v_mad_u32_u24 v5, v2, s2, v22
	v_mad_u64_u32 v[2:3], s[0:1], s20, v5, 0
	v_add_u32_e32 v6, 0x3a8, v5
	v_add_co_u32_e32 v0, vcc, v9, v0
	v_mad_u64_u32 v[3:4], s[0:1], s21, v5, v[3:4]
	v_mad_u64_u32 v[4:5], s[0:1], s20, v6, 0
	v_addc_co_u32_e32 v1, vcc, v18, v1, vcc
	global_store_dwordx2 v[0:1], v[16:17], off
	v_lshlrev_b64 v[0:1], 3, v[2:3]
	v_mov_b32_e32 v2, v5
	v_mad_u64_u32 v[2:3], s[0:1], s21, v6, v[2:3]
	v_add_co_u32_e32 v0, vcc, v9, v0
	v_fma_f32 v14, v14, 2.0, -v28
	v_addc_co_u32_e32 v1, vcc, v18, v1, vcc
	v_mov_b32_e32 v5, v2
	global_store_dwordx2 v[0:1], v[14:15], off
	v_lshlrev_b64 v[0:1], 3, v[4:5]
	v_add_co_u32_e32 v0, vcc, v9, v0
	v_addc_co_u32_e32 v1, vcc, v18, v1, vcc
	global_store_dwordx2 v[0:1], v[28:29], off
.LBB0_17:
	s_endpgm
	.section	.rodata,"a",@progbits
	.p2align	6, 0x0
	.amdhsa_kernel fft_rtc_fwd_len1872_factors_13_3_4_6_2_wgs_156_tpt_156_halfLds_sp_op_CI_CI_sbrr_dirReg
		.amdhsa_group_segment_fixed_size 0
		.amdhsa_private_segment_fixed_size 0
		.amdhsa_kernarg_size 104
		.amdhsa_user_sgpr_count 6
		.amdhsa_user_sgpr_private_segment_buffer 1
		.amdhsa_user_sgpr_dispatch_ptr 0
		.amdhsa_user_sgpr_queue_ptr 0
		.amdhsa_user_sgpr_kernarg_segment_ptr 1
		.amdhsa_user_sgpr_dispatch_id 0
		.amdhsa_user_sgpr_flat_scratch_init 0
		.amdhsa_user_sgpr_private_segment_size 0
		.amdhsa_uses_dynamic_stack 0
		.amdhsa_system_sgpr_private_segment_wavefront_offset 0
		.amdhsa_system_sgpr_workgroup_id_x 1
		.amdhsa_system_sgpr_workgroup_id_y 0
		.amdhsa_system_sgpr_workgroup_id_z 0
		.amdhsa_system_sgpr_workgroup_info 0
		.amdhsa_system_vgpr_workitem_id 0
		.amdhsa_next_free_vgpr 61
		.amdhsa_next_free_sgpr 32
		.amdhsa_reserve_vcc 1
		.amdhsa_reserve_flat_scratch 0
		.amdhsa_float_round_mode_32 0
		.amdhsa_float_round_mode_16_64 0
		.amdhsa_float_denorm_mode_32 3
		.amdhsa_float_denorm_mode_16_64 3
		.amdhsa_dx10_clamp 1
		.amdhsa_ieee_mode 1
		.amdhsa_fp16_overflow 0
		.amdhsa_exception_fp_ieee_invalid_op 0
		.amdhsa_exception_fp_denorm_src 0
		.amdhsa_exception_fp_ieee_div_zero 0
		.amdhsa_exception_fp_ieee_overflow 0
		.amdhsa_exception_fp_ieee_underflow 0
		.amdhsa_exception_fp_ieee_inexact 0
		.amdhsa_exception_int_div_zero 0
	.end_amdhsa_kernel
	.text
.Lfunc_end0:
	.size	fft_rtc_fwd_len1872_factors_13_3_4_6_2_wgs_156_tpt_156_halfLds_sp_op_CI_CI_sbrr_dirReg, .Lfunc_end0-fft_rtc_fwd_len1872_factors_13_3_4_6_2_wgs_156_tpt_156_halfLds_sp_op_CI_CI_sbrr_dirReg
                                        ; -- End function
	.section	.AMDGPU.csdata,"",@progbits
; Kernel info:
; codeLenInByte = 9484
; NumSgprs: 36
; NumVgprs: 61
; ScratchSize: 0
; MemoryBound: 0
; FloatMode: 240
; IeeeMode: 1
; LDSByteSize: 0 bytes/workgroup (compile time only)
; SGPRBlocks: 4
; VGPRBlocks: 15
; NumSGPRsForWavesPerEU: 36
; NumVGPRsForWavesPerEU: 61
; Occupancy: 4
; WaveLimiterHint : 1
; COMPUTE_PGM_RSRC2:SCRATCH_EN: 0
; COMPUTE_PGM_RSRC2:USER_SGPR: 6
; COMPUTE_PGM_RSRC2:TRAP_HANDLER: 0
; COMPUTE_PGM_RSRC2:TGID_X_EN: 1
; COMPUTE_PGM_RSRC2:TGID_Y_EN: 0
; COMPUTE_PGM_RSRC2:TGID_Z_EN: 0
; COMPUTE_PGM_RSRC2:TIDIG_COMP_CNT: 0
	.type	__hip_cuid_da468a903f0a6eb7,@object ; @__hip_cuid_da468a903f0a6eb7
	.section	.bss,"aw",@nobits
	.globl	__hip_cuid_da468a903f0a6eb7
__hip_cuid_da468a903f0a6eb7:
	.byte	0                               ; 0x0
	.size	__hip_cuid_da468a903f0a6eb7, 1

	.ident	"AMD clang version 19.0.0git (https://github.com/RadeonOpenCompute/llvm-project roc-6.4.0 25133 c7fe45cf4b819c5991fe208aaa96edf142730f1d)"
	.section	".note.GNU-stack","",@progbits
	.addrsig
	.addrsig_sym __hip_cuid_da468a903f0a6eb7
	.amdgpu_metadata
---
amdhsa.kernels:
  - .args:
      - .actual_access:  read_only
        .address_space:  global
        .offset:         0
        .size:           8
        .value_kind:     global_buffer
      - .offset:         8
        .size:           8
        .value_kind:     by_value
      - .actual_access:  read_only
        .address_space:  global
        .offset:         16
        .size:           8
        .value_kind:     global_buffer
      - .actual_access:  read_only
        .address_space:  global
        .offset:         24
        .size:           8
        .value_kind:     global_buffer
      - .actual_access:  read_only
        .address_space:  global
        .offset:         32
        .size:           8
        .value_kind:     global_buffer
      - .offset:         40
        .size:           8
        .value_kind:     by_value
      - .actual_access:  read_only
        .address_space:  global
        .offset:         48
        .size:           8
        .value_kind:     global_buffer
      - .actual_access:  read_only
        .address_space:  global
        .offset:         56
        .size:           8
        .value_kind:     global_buffer
      - .offset:         64
        .size:           4
        .value_kind:     by_value
      - .actual_access:  read_only
        .address_space:  global
        .offset:         72
        .size:           8
        .value_kind:     global_buffer
      - .actual_access:  read_only
        .address_space:  global
        .offset:         80
        .size:           8
        .value_kind:     global_buffer
      - .actual_access:  read_only
        .address_space:  global
        .offset:         88
        .size:           8
        .value_kind:     global_buffer
      - .actual_access:  write_only
        .address_space:  global
        .offset:         96
        .size:           8
        .value_kind:     global_buffer
    .group_segment_fixed_size: 0
    .kernarg_segment_align: 8
    .kernarg_segment_size: 104
    .language:       OpenCL C
    .language_version:
      - 2
      - 0
    .max_flat_workgroup_size: 156
    .name:           fft_rtc_fwd_len1872_factors_13_3_4_6_2_wgs_156_tpt_156_halfLds_sp_op_CI_CI_sbrr_dirReg
    .private_segment_fixed_size: 0
    .sgpr_count:     36
    .sgpr_spill_count: 0
    .symbol:         fft_rtc_fwd_len1872_factors_13_3_4_6_2_wgs_156_tpt_156_halfLds_sp_op_CI_CI_sbrr_dirReg.kd
    .uniform_work_group_size: 1
    .uses_dynamic_stack: false
    .vgpr_count:     61
    .vgpr_spill_count: 0
    .wavefront_size: 64
amdhsa.target:   amdgcn-amd-amdhsa--gfx906
amdhsa.version:
  - 1
  - 2
...

	.end_amdgpu_metadata
